;; amdgpu-corpus repo=ROCm/rocFFT kind=compiled arch=gfx950 opt=O3
	.text
	.amdgcn_target "amdgcn-amd-amdhsa--gfx950"
	.amdhsa_code_object_version 6
	.protected	fft_rtc_back_len224_factors_7_2_2_2_2_2_wgs_64_tpt_16_halfLds_dp_op_CI_CI_unitstride_sbrr_C2R_dirReg ; -- Begin function fft_rtc_back_len224_factors_7_2_2_2_2_2_wgs_64_tpt_16_halfLds_dp_op_CI_CI_unitstride_sbrr_C2R_dirReg
	.globl	fft_rtc_back_len224_factors_7_2_2_2_2_2_wgs_64_tpt_16_halfLds_dp_op_CI_CI_unitstride_sbrr_C2R_dirReg
	.p2align	8
	.type	fft_rtc_back_len224_factors_7_2_2_2_2_2_wgs_64_tpt_16_halfLds_dp_op_CI_CI_unitstride_sbrr_C2R_dirReg,@function
fft_rtc_back_len224_factors_7_2_2_2_2_2_wgs_64_tpt_16_halfLds_dp_op_CI_CI_unitstride_sbrr_C2R_dirReg: ; @fft_rtc_back_len224_factors_7_2_2_2_2_2_wgs_64_tpt_16_halfLds_dp_op_CI_CI_unitstride_sbrr_C2R_dirReg
; %bb.0:
	s_load_dwordx4 s[4:7], s[0:1], 0x58
	s_load_dwordx4 s[8:11], s[0:1], 0x0
	;; [unrolled: 1-line block ×3, first 2 shown]
	v_lshrrev_b32_e32 v1, 4, v0
	v_lshl_or_b32 v6, s2, 2, v1
	v_mov_b32_e32 v4, 0
	s_waitcnt lgkmcnt(0)
	v_cmp_lt_u64_e64 s[2:3], s[10:11], 2
	v_mov_b32_e32 v7, v4
	s_and_b64 vcc, exec, s[2:3]
	v_mov_b64_e32 v[2:3], 0
	s_cbranch_vccnz .LBB0_8
; %bb.1:
	s_load_dwordx2 s[2:3], s[0:1], 0x10
	s_add_u32 s16, s14, 8
	s_addc_u32 s17, s15, 0
	s_add_u32 s18, s12, 8
	s_addc_u32 s19, s13, 0
	s_waitcnt lgkmcnt(0)
	s_add_u32 s20, s2, 8
	v_mov_b64_e32 v[2:3], 0
	s_addc_u32 s21, s3, 0
	s_mov_b64 s[22:23], 1
	v_mov_b64_e32 v[12:13], v[2:3]
.LBB0_2:                                ; =>This Inner Loop Header: Depth=1
	s_load_dwordx2 s[24:25], s[20:21], 0x0
                                        ; implicit-def: $vgpr16_vgpr17
	s_waitcnt lgkmcnt(0)
	v_or_b32_e32 v5, s25, v7
	v_cmp_ne_u64_e32 vcc, 0, v[4:5]
	s_and_saveexec_b64 s[2:3], vcc
	s_xor_b64 s[26:27], exec, s[2:3]
	s_cbranch_execz .LBB0_4
; %bb.3:                                ;   in Loop: Header=BB0_2 Depth=1
	v_cvt_f32_u32_e32 v5, s24
	v_cvt_f32_u32_e32 v8, s25
	s_sub_u32 s2, 0, s24
	s_subb_u32 s3, 0, s25
	v_fmac_f32_e32 v5, 0x4f800000, v8
	v_rcp_f32_e32 v5, v5
	s_nop 0
	v_mul_f32_e32 v5, 0x5f7ffffc, v5
	v_mul_f32_e32 v8, 0x2f800000, v5
	v_trunc_f32_e32 v8, v8
	v_fmac_f32_e32 v5, 0xcf800000, v8
	v_cvt_u32_f32_e32 v14, v8
	v_cvt_u32_f32_e32 v5, v5
	v_mul_lo_u32 v8, s2, v14
	v_mul_hi_u32 v10, s2, v5
	v_mul_lo_u32 v9, s3, v5
	v_add_u32_e32 v10, v10, v8
	v_mul_lo_u32 v15, s2, v5
	v_add_u32_e32 v16, v10, v9
	v_mul_hi_u32 v8, v5, v15
	v_mul_hi_u32 v11, v5, v16
	v_mul_lo_u32 v10, v5, v16
	v_mov_b32_e32 v9, v4
	v_lshl_add_u64 v[8:9], v[8:9], 0, v[10:11]
	v_mul_hi_u32 v11, v14, v15
	v_mul_lo_u32 v15, v14, v15
	v_add_co_u32_e32 v8, vcc, v8, v15
	v_mul_hi_u32 v10, v14, v16
	s_nop 0
	v_addc_co_u32_e32 v8, vcc, v9, v11, vcc
	v_mov_b32_e32 v9, v4
	s_nop 0
	v_addc_co_u32_e32 v11, vcc, 0, v10, vcc
	v_mul_lo_u32 v10, v14, v16
	v_lshl_add_u64 v[8:9], v[8:9], 0, v[10:11]
	v_add_co_u32_e32 v5, vcc, v5, v8
	v_mul_lo_u32 v10, s2, v5
	s_nop 0
	v_addc_co_u32_e32 v14, vcc, v14, v9, vcc
	v_mul_lo_u32 v8, s2, v14
	v_mul_hi_u32 v9, s2, v5
	v_add_u32_e32 v8, v9, v8
	v_mul_lo_u32 v9, s3, v5
	v_add_u32_e32 v15, v8, v9
	v_mul_hi_u32 v17, v14, v10
	v_mul_lo_u32 v18, v14, v10
	v_mul_hi_u32 v9, v5, v15
	v_mul_lo_u32 v8, v5, v15
	v_mul_hi_u32 v10, v5, v10
	v_mov_b32_e32 v11, v4
	v_lshl_add_u64 v[8:9], v[10:11], 0, v[8:9]
	v_add_co_u32_e32 v8, vcc, v8, v18
	v_mul_hi_u32 v16, v14, v15
	s_nop 0
	v_addc_co_u32_e32 v8, vcc, v9, v17, vcc
	v_mul_lo_u32 v10, v14, v15
	s_nop 0
	v_addc_co_u32_e32 v11, vcc, 0, v16, vcc
	v_mov_b32_e32 v9, v4
	v_lshl_add_u64 v[8:9], v[8:9], 0, v[10:11]
	v_add_co_u32_e32 v5, vcc, v5, v8
	v_mul_hi_u32 v10, v6, v5
	s_nop 0
	v_addc_co_u32_e32 v14, vcc, v14, v9, vcc
	v_mad_u64_u32 v[8:9], s[2:3], v6, v14, 0
	v_mov_b32_e32 v11, v4
	v_lshl_add_u64 v[8:9], v[10:11], 0, v[8:9]
	v_mad_u64_u32 v[10:11], s[2:3], v7, v14, 0
	v_mad_u64_u32 v[14:15], s[2:3], v7, v5, 0
	v_add_co_u32_e32 v5, vcc, v8, v14
	s_nop 1
	v_addc_co_u32_e32 v8, vcc, v9, v15, vcc
	v_mov_b32_e32 v9, v4
	s_nop 0
	v_addc_co_u32_e32 v11, vcc, 0, v11, vcc
	v_lshl_add_u64 v[8:9], v[8:9], 0, v[10:11]
	v_mul_lo_u32 v5, s25, v8
	v_mul_lo_u32 v14, s24, v9
	v_mad_u64_u32 v[10:11], s[2:3], s24, v8, 0
	v_add3_u32 v5, v11, v14, v5
	v_sub_u32_e32 v11, v7, v5
	v_mov_b32_e32 v14, s25
	v_sub_co_u32_e32 v16, vcc, v6, v10
	s_nop 1
	v_subb_co_u32_e64 v10, s[2:3], v11, v14, vcc
	v_subrev_co_u32_e64 v11, s[2:3], s24, v16
	v_subb_co_u32_e32 v5, vcc, v7, v5, vcc
	s_nop 0
	v_subbrev_co_u32_e64 v10, s[2:3], 0, v10, s[2:3]
	v_cmp_le_u32_e64 s[2:3], s25, v10
	v_cmp_le_u32_e32 vcc, s25, v5
	s_nop 0
	v_cndmask_b32_e64 v14, 0, -1, s[2:3]
	v_cmp_le_u32_e64 s[2:3], s24, v11
	s_nop 1
	v_cndmask_b32_e64 v11, 0, -1, s[2:3]
	v_cmp_eq_u32_e64 s[2:3], s25, v10
	s_nop 1
	v_cndmask_b32_e64 v17, v14, v11, s[2:3]
	v_lshl_add_u64 v[10:11], v[8:9], 0, 2
	v_lshl_add_u64 v[14:15], v[8:9], 0, 1
	v_cmp_ne_u32_e64 s[2:3], 0, v17
	s_nop 1
	v_cndmask_b32_e64 v11, v15, v11, s[2:3]
	v_cndmask_b32_e64 v15, 0, -1, vcc
	v_cmp_le_u32_e32 vcc, s24, v16
	s_nop 1
	v_cndmask_b32_e64 v16, 0, -1, vcc
	v_cmp_eq_u32_e32 vcc, s25, v5
	s_nop 1
	v_cndmask_b32_e32 v5, v15, v16, vcc
	v_cmp_ne_u32_e32 vcc, 0, v5
	v_cndmask_b32_e64 v5, v14, v10, s[2:3]
	s_nop 0
	v_cndmask_b32_e32 v17, v9, v11, vcc
	v_cndmask_b32_e32 v16, v8, v5, vcc
.LBB0_4:                                ;   in Loop: Header=BB0_2 Depth=1
	s_andn2_saveexec_b64 s[2:3], s[26:27]
	s_cbranch_execz .LBB0_6
; %bb.5:                                ;   in Loop: Header=BB0_2 Depth=1
	v_cvt_f32_u32_e32 v5, s24
	s_sub_i32 s26, 0, s24
	v_mov_b32_e32 v17, v4
	v_rcp_iflag_f32_e32 v5, v5
	s_nop 0
	v_mul_f32_e32 v5, 0x4f7ffffe, v5
	v_cvt_u32_f32_e32 v5, v5
	v_mul_lo_u32 v8, s26, v5
	v_mul_hi_u32 v8, v5, v8
	v_add_u32_e32 v5, v5, v8
	v_mul_hi_u32 v5, v6, v5
	v_mul_lo_u32 v8, v5, s24
	v_sub_u32_e32 v8, v6, v8
	v_add_u32_e32 v9, 1, v5
	v_subrev_u32_e32 v10, s24, v8
	v_cmp_le_u32_e32 vcc, s24, v8
	s_nop 1
	v_cndmask_b32_e32 v8, v8, v10, vcc
	v_cndmask_b32_e32 v5, v5, v9, vcc
	v_add_u32_e32 v9, 1, v5
	v_cmp_le_u32_e32 vcc, s24, v8
	s_nop 1
	v_cndmask_b32_e32 v16, v5, v9, vcc
.LBB0_6:                                ;   in Loop: Header=BB0_2 Depth=1
	s_or_b64 exec, exec, s[2:3]
	v_mad_u64_u32 v[8:9], s[2:3], v16, s24, 0
	s_load_dwordx2 s[2:3], s[18:19], 0x0
	v_mul_lo_u32 v5, v17, s24
	v_mul_lo_u32 v10, v16, s25
	s_load_dwordx2 s[24:25], s[16:17], 0x0
	s_add_u32 s22, s22, 1
	v_add3_u32 v5, v9, v10, v5
	v_sub_co_u32_e32 v6, vcc, v6, v8
	s_addc_u32 s23, s23, 0
	s_nop 0
	v_subb_co_u32_e32 v5, vcc, v7, v5, vcc
	s_add_u32 s16, s16, 8
	s_waitcnt lgkmcnt(0)
	v_mul_lo_u32 v7, s2, v5
	v_mul_lo_u32 v8, s3, v6
	v_mad_u64_u32 v[2:3], s[2:3], s2, v6, v[2:3]
	s_addc_u32 s17, s17, 0
	v_add3_u32 v3, v8, v3, v7
	v_mul_lo_u32 v5, s24, v5
	v_mul_lo_u32 v7, s25, v6
	v_mad_u64_u32 v[12:13], s[2:3], s24, v6, v[12:13]
	s_add_u32 s18, s18, 8
	v_add3_u32 v13, v7, v13, v5
	s_addc_u32 s19, s19, 0
	v_mov_b64_e32 v[6:7], s[10:11]
	s_add_u32 s20, s20, 8
	v_cmp_ge_u64_e32 vcc, s[22:23], v[6:7]
	s_addc_u32 s21, s21, 0
	s_cbranch_vccnz .LBB0_9
; %bb.7:                                ;   in Loop: Header=BB0_2 Depth=1
	v_mov_b64_e32 v[6:7], v[16:17]
	s_branch .LBB0_2
.LBB0_8:
	v_mov_b64_e32 v[12:13], v[2:3]
	v_mov_b64_e32 v[16:17], v[6:7]
.LBB0_9:
	s_load_dwordx2 s[0:1], s[0:1], 0x28
	s_lshl_b64 s[16:17], s[10:11], 3
	s_add_u32 s2, s14, s16
	s_addc_u32 s3, s15, s17
	v_and_b32_e32 v14, 15, v0
	s_waitcnt lgkmcnt(0)
	v_cmp_gt_u64_e32 vcc, s[0:1], v[16:17]
	v_cmp_le_u64_e64 s[0:1], s[0:1], v[16:17]
                                        ; implicit-def: $vgpr4_vgpr5
	s_and_saveexec_b64 s[10:11], s[0:1]
	s_xor_b64 s[0:1], exec, s[10:11]
; %bb.10:
	v_and_b32_e32 v14, 15, v0
	v_mov_b32_e32 v15, 0
	v_mov_b64_e32 v[4:5], v[14:15]
                                        ; implicit-def: $vgpr2_vgpr3
; %bb.11:
	s_or_saveexec_b64 s[10:11], s[0:1]
	s_load_dwordx2 s[2:3], s[2:3], 0x0
	v_mul_u32_u24_e32 v6, 0xe1, v1
	v_lshlrev_b32_e32 v29, 4, v6
                                        ; implicit-def: $vgpr18
	s_xor_b64 exec, exec, s[10:11]
	s_cbranch_execz .LBB0_15
; %bb.12:
	s_add_u32 s0, s12, s16
	s_addc_u32 s1, s13, s17
	s_load_dwordx2 s[0:1], s[0:1], 0x0
	v_mov_b32_e32 v15, 0
	s_waitcnt lgkmcnt(0)
	v_mul_lo_u32 v4, s1, v16
	v_mul_lo_u32 v5, s0, v17
	v_mad_u64_u32 v[0:1], s[0:1], s0, v16, 0
	v_add3_u32 v1, v1, v5, v4
	v_lshl_add_u64 v[0:1], v[0:1], 4, s[4:5]
	v_lshl_add_u64 v[0:1], v[2:3], 4, v[0:1]
	v_lshlrev_b32_e32 v2, 4, v14
	v_mov_b32_e32 v3, v15
	v_lshl_add_u64 v[4:5], v[0:1], 0, v[2:3]
	global_load_dwordx4 v[8:11], v[4:5], off
	global_load_dwordx4 v[18:21], v[4:5], off offset:256
	global_load_dwordx4 v[22:25], v[4:5], off offset:512
	;; [unrolled: 1-line block ×13, first 2 shown]
	v_cmp_eq_u32_e64 s[0:1], 15, v14
	v_add3_u32 v2, 0, v29, v2
	v_mov_b64_e32 v[4:5], v[14:15]
	s_waitcnt vmcnt(13)
	ds_write_b128 v2, v[8:11]
	s_waitcnt vmcnt(12)
	ds_write_b128 v2, v[18:21] offset:256
	s_waitcnt vmcnt(11)
	ds_write_b128 v2, v[22:25] offset:512
	;; [unrolled: 2-line block ×13, first 2 shown]
	s_and_saveexec_b64 s[4:5], s[0:1]
	s_cbranch_execz .LBB0_14
; %bb.13:
	global_load_dwordx4 v[8:11], v[0:1], off offset:3584
	v_mov_b32_e32 v14, 15
	v_mov_b64_e32 v[4:5], 15
	s_waitcnt vmcnt(0)
	ds_write_b128 v2, v[8:11] offset:3344
.LBB0_14:
	s_or_b64 exec, exec, s[4:5]
	v_mov_b32_e32 v18, v14
.LBB0_15:
	s_or_b64 exec, exec, s[10:11]
	v_lshl_add_u32 v28, v6, 4, 0
	v_lshlrev_b32_e32 v27, 4, v14
	v_add_u32_e32 v19, v28, v27
	s_waitcnt lgkmcnt(0)
	; wave barrier
	s_waitcnt lgkmcnt(0)
	v_sub_u32_e32 v26, v28, v27
	ds_read_b64 v[6:7], v19
	ds_read_b64 v[8:9], v26 offset:3584
	v_cmp_ne_u32_e64 s[0:1], 0, v14
	v_lshl_add_u64 v[20:21], v[4:5], 4, s[8:9]
	s_waitcnt lgkmcnt(0)
	v_add_f64 v[0:1], v[6:7], v[8:9]
	v_add_f64 v[2:3], v[6:7], -v[8:9]
	s_and_saveexec_b64 s[4:5], s[0:1]
	s_xor_b64 s[0:1], exec, s[4:5]
	s_cbranch_execz .LBB0_17
; %bb.16:
	global_load_dwordx4 v[22:25], v[20:21], off offset:3472
	ds_read_b64 v[0:1], v26 offset:3592
	ds_read_b64 v[2:3], v19 offset:8
	v_add_f64 v[4:5], v[6:7], v[8:9]
	v_add_f64 v[8:9], v[6:7], -v[8:9]
	s_waitcnt lgkmcnt(0)
	v_add_f64 v[10:11], v[0:1], v[2:3]
	v_add_f64 v[0:1], v[2:3], -v[0:1]
	s_waitcnt vmcnt(0)
	v_fma_f64 v[30:31], v[8:9], v[24:25], v[4:5]
	v_fma_f64 v[4:5], -v[8:9], v[24:25], v[4:5]
	v_fma_f64 v[6:7], v[10:11], v[24:25], -v[0:1]
	v_fma_f64 v[2:3], v[10:11], v[24:25], v[0:1]
	v_fmac_f64_e32 v[4:5], v[10:11], v[22:23]
	v_fmac_f64_e32 v[6:7], v[8:9], v[22:23]
	v_fma_f64 v[0:1], -v[10:11], v[22:23], v[30:31]
	v_fmac_f64_e32 v[2:3], v[8:9], v[22:23]
	ds_write_b128 v26, v[4:7] offset:3584
.LBB0_17:
	s_andn2_saveexec_b64 s[0:1], s[0:1]
	s_cbranch_execz .LBB0_19
; %bb.18:
	ds_read_b128 v[4:7], v28 offset:1792
	s_waitcnt lgkmcnt(0)
	v_add_f64 v[4:5], v[4:5], v[4:5]
	v_mul_f64 v[6:7], v[6:7], -2.0
	ds_write_b128 v28, v[4:7] offset:1792
.LBB0_19:
	s_or_b64 exec, exec, s[0:1]
	s_add_u32 s0, s8, 0xd90
	v_mov_b32_e32 v15, 0
	s_addc_u32 s1, s9, 0
	v_lshlrev_b64 v[22:23], 4, v[14:15]
	v_lshl_add_u64 v[24:25], s[0:1], 0, v[22:23]
	global_load_dwordx4 v[8:11], v[24:25], off offset:256
	global_load_dwordx4 v[4:7], v[24:25], off offset:512
	;; [unrolled: 1-line block ×4, first 2 shown]
	ds_write_b128 v19, v[0:3]
	ds_read_b128 v[0:3], v19 offset:256
	ds_read_b128 v[38:41], v26 offset:3328
	global_load_dwordx4 v[42:45], v[24:25], off offset:1280
	s_mov_b32 s20, 0xaaaaaaaa
	s_mov_b32 s21, 0xbff2aaaa
	s_mov_b32 s24, 0xe976ee23
	s_waitcnt lgkmcnt(0)
	v_add_f64 v[46:47], v[0:1], v[38:39]
	v_add_f64 v[48:49], v[40:41], v[2:3]
	v_add_f64 v[50:51], v[0:1], -v[38:39]
	v_add_f64 v[0:1], v[2:3], -v[40:41]
	s_mov_b32 s14, 0x37e14327
	s_mov_b32 s0, 0x36b3c0b5
	;; [unrolled: 1-line block ×17, first 2 shown]
	s_waitcnt vmcnt(4)
	v_fma_f64 v[52:53], v[50:51], v[10:11], v[46:47]
	v_fma_f64 v[2:3], v[48:49], v[10:11], v[0:1]
	v_fma_f64 v[38:39], -v[50:51], v[10:11], v[46:47]
	v_fma_f64 v[40:41], v[48:49], v[10:11], -v[0:1]
	v_fma_f64 v[0:1], -v[48:49], v[8:9], v[52:53]
	v_fmac_f64_e32 v[2:3], v[50:51], v[8:9]
	v_fmac_f64_e32 v[38:39], v[48:49], v[8:9]
	;; [unrolled: 1-line block ×3, first 2 shown]
	ds_write_b128 v19, v[0:3] offset:256
	ds_write_b128 v26, v[38:41] offset:3328
	ds_read_b128 v[0:3], v19 offset:512
	ds_read_b128 v[8:11], v26 offset:3072
	global_load_dwordx4 v[38:41], v[24:25], off offset:1536
	s_waitcnt lgkmcnt(0)
	v_add_f64 v[24:25], v[0:1], v[8:9]
	v_add_f64 v[46:47], v[10:11], v[2:3]
	v_add_f64 v[48:49], v[0:1], -v[8:9]
	v_add_f64 v[0:1], v[2:3], -v[10:11]
	s_waitcnt vmcnt(4)
	v_fma_f64 v[50:51], v[48:49], v[6:7], v[24:25]
	v_fma_f64 v[2:3], v[46:47], v[6:7], v[0:1]
	v_fma_f64 v[8:9], -v[48:49], v[6:7], v[24:25]
	v_fma_f64 v[10:11], v[46:47], v[6:7], -v[0:1]
	v_fma_f64 v[0:1], -v[46:47], v[4:5], v[50:51]
	v_fmac_f64_e32 v[2:3], v[48:49], v[4:5]
	v_fmac_f64_e32 v[8:9], v[46:47], v[4:5]
	v_fmac_f64_e32 v[10:11], v[48:49], v[4:5]
	ds_write_b128 v19, v[0:3] offset:512
	ds_write_b128 v26, v[8:11] offset:3072
	ds_read_b128 v[0:3], v19 offset:768
	ds_read_b128 v[4:7], v26 offset:2816
	s_waitcnt lgkmcnt(0)
	v_add_f64 v[8:9], v[0:1], v[4:5]
	v_add_f64 v[10:11], v[6:7], v[2:3]
	v_add_f64 v[24:25], v[0:1], -v[4:5]
	v_add_f64 v[0:1], v[2:3], -v[6:7]
	s_waitcnt vmcnt(3)
	v_fma_f64 v[46:47], v[24:25], v[32:33], v[8:9]
	v_fma_f64 v[2:3], v[10:11], v[32:33], v[0:1]
	v_fma_f64 v[4:5], -v[24:25], v[32:33], v[8:9]
	v_fma_f64 v[6:7], v[10:11], v[32:33], -v[0:1]
	v_fma_f64 v[0:1], -v[10:11], v[30:31], v[46:47]
	v_fmac_f64_e32 v[2:3], v[24:25], v[30:31]
	v_fmac_f64_e32 v[4:5], v[10:11], v[30:31]
	v_fmac_f64_e32 v[6:7], v[24:25], v[30:31]
	ds_write_b128 v19, v[0:3] offset:768
	ds_write_b128 v26, v[4:7] offset:2816
	ds_read_b128 v[0:3], v19 offset:1024
	ds_read_b128 v[4:7], v26 offset:2560
	;; [unrolled: 18-line block ×4, first 2 shown]
	v_add3_u32 v30, 0, v27, v29
	s_waitcnt lgkmcnt(0)
	v_add_f64 v[8:9], v[0:1], v[4:5]
	v_add_f64 v[10:11], v[6:7], v[2:3]
	v_add_f64 v[24:25], v[0:1], -v[4:5]
	v_add_f64 v[0:1], v[2:3], -v[6:7]
	s_waitcnt vmcnt(0)
	v_fma_f64 v[32:33], v[24:25], v[40:41], v[8:9]
	v_fma_f64 v[2:3], v[10:11], v[40:41], v[0:1]
	v_fma_f64 v[4:5], -v[24:25], v[40:41], v[8:9]
	v_fma_f64 v[6:7], v[10:11], v[40:41], -v[0:1]
	v_fma_f64 v[0:1], -v[10:11], v[38:39], v[32:33]
	v_fmac_f64_e32 v[2:3], v[24:25], v[38:39]
	v_fmac_f64_e32 v[4:5], v[10:11], v[38:39]
	;; [unrolled: 1-line block ×3, first 2 shown]
	ds_write_b128 v19, v[0:3] offset:1536
	ds_write_b128 v26, v[4:7] offset:2048
	s_waitcnt lgkmcnt(0)
	; wave barrier
	s_waitcnt lgkmcnt(0)
	s_waitcnt lgkmcnt(0)
	; wave barrier
	s_waitcnt lgkmcnt(0)
	ds_read_b128 v[4:7], v30 offset:3072
	ds_read_b128 v[8:11], v30 offset:512
	;; [unrolled: 1-line block ×12, first 2 shown]
	s_waitcnt lgkmcnt(10)
	v_add_f64 v[0:1], v[8:9], v[4:5]
	v_add_f64 v[2:3], v[10:11], v[6:7]
	s_waitcnt lgkmcnt(2)
	v_add_f64 v[68:69], v[24:25], v[56:57]
	v_add_f64 v[4:5], v[8:9], -v[4:5]
	s_waitcnt lgkmcnt(0)
	v_add_f64 v[72:73], v[32:33], v[64:65]
	v_add_f64 v[74:75], v[34:35], v[66:67]
	v_add_f64 v[64:65], v[32:33], -v[64:65]
	v_add_f64 v[66:67], v[34:35], -v[66:67]
	ds_read_b128 v[32:35], v19
	v_add_f64 v[70:71], v[26:27], v[58:59]
	v_add_f64 v[56:57], v[24:25], -v[56:57]
	v_add_f64 v[8:9], v[40:41], v[48:49]
	v_add_f64 v[24:25], v[48:49], -v[40:41]
	;; [unrolled: 2-line block ×3, first 2 shown]
	v_add_f64 v[10:11], v[42:43], v[50:51]
	v_add_f64 v[76:77], v[36:37], v[60:61]
	v_add_f64 v[60:61], v[36:37], -v[60:61]
	v_add_f64 v[36:37], v[70:71], v[2:3]
	v_add_f64 v[40:41], v[8:9], v[40:41]
	v_add_f64 v[58:59], v[26:27], -v[58:59]
	v_add_f64 v[26:27], v[50:51], -v[42:43]
	v_add_f64 v[78:79], v[38:39], v[62:63]
	v_add_f64 v[62:63], v[38:39], -v[62:63]
	v_add_f64 v[42:43], v[10:11], v[36:37]
	ds_read_b128 v[36:39], v30 offset:256
	s_waitcnt lgkmcnt(1)
	v_add_f64 v[32:33], v[32:33], v[40:41]
	v_add_f64 v[34:35], v[34:35], v[42:43]
	v_mov_b64_e32 v[48:49], v[32:33]
	v_add_f64 v[80:81], v[44:45], v[52:53]
	v_add_f64 v[82:83], v[46:47], v[54:55]
	v_add_f64 v[84:85], v[52:53], -v[44:45]
	v_add_f64 v[86:87], v[54:55], -v[46:47]
	v_fmac_f64_e32 v[48:49], s[20:21], v[40:41]
	v_mov_b64_e32 v[50:51], v[34:35]
	v_add_f64 v[52:53], v[68:69], -v[0:1]
	v_add_f64 v[40:41], v[24:25], v[56:57]
	v_add_f64 v[46:47], v[26:27], -v[58:59]
	v_add_f64 v[0:1], v[0:1], -v[8:9]
	v_fmac_f64_e32 v[50:51], s[20:21], v[42:43]
	v_add_f64 v[54:55], v[8:9], -v[68:69]
	v_add_f64 v[68:69], v[70:71], -v[2:3]
	;; [unrolled: 1-line block ×5, first 2 shown]
	v_add_f64 v[44:45], v[26:27], v[58:59]
	v_add_f64 v[58:59], v[58:59], -v[6:7]
	v_add_f64 v[88:89], v[40:41], v[4:5]
	v_mul_f64 v[94:95], v[46:47], s[24:25]
	v_add_f64 v[2:3], v[2:3], -v[10:11]
	v_add_f64 v[4:5], v[4:5], -v[24:25]
	;; [unrolled: 1-line block ×3, first 2 shown]
	v_mul_f64 v[24:25], v[0:1], s[14:15]
	v_add_f64 v[90:91], v[44:45], v[6:7]
	v_mul_f64 v[92:93], v[42:43], s[24:25]
	v_mul_f64 v[40:41], v[54:55], s[0:1]
	v_fma_f64 v[98:99], v[58:59], s[10:11], -v[94:95]
	v_mul_f64 v[26:27], v[2:3], s[14:15]
	v_mul_f64 v[0:1], v[56:57], s[10:11]
	v_fma_f64 v[6:7], v[52:53], s[16:17], -v[24:25]
	v_fmac_f64_e32 v[24:25], s[0:1], v[54:55]
	v_fmac_f64_e32 v[94:95], s[12:13], v[10:11]
	v_fma_f64 v[40:41], v[52:53], s[22:23], -v[40:41]
	v_mul_f64 v[42:43], v[70:71], s[0:1]
	v_fma_f64 v[96:97], v[56:57], s[10:11], -v[92:93]
	v_mul_f64 v[2:3], v[58:59], s[10:11]
	v_fma_f64 v[8:9], v[68:69], s[16:17], -v[26:27]
	v_fma_f64 v[52:53], v[4:5], s[18:19], -v[0:1]
	v_fmac_f64_e32 v[26:27], s[0:1], v[70:71]
	v_fmac_f64_e32 v[92:93], s[12:13], v[4:5]
	v_add_f64 v[4:5], v[24:25], v[48:49]
	v_fmac_f64_e32 v[94:95], s[4:5], v[90:91]
	v_fma_f64 v[42:43], v[68:69], s[22:23], -v[42:43]
	v_add_f64 v[44:45], v[40:41], v[48:49]
	v_fma_f64 v[56:57], v[10:11], s[18:19], -v[2:3]
	v_add_f64 v[6:7], v[6:7], v[48:49]
	v_add_f64 v[10:11], v[26:27], v[50:51]
	v_fmac_f64_e32 v[92:93], s[4:5], v[88:89]
	v_add_f64 v[24:25], v[4:5], v[94:95]
	v_add_f64 v[48:49], v[4:5], -v[94:95]
	v_add_f64 v[4:5], v[76:77], v[72:73]
	v_add_f64 v[46:47], v[42:43], v[50:51]
	;; [unrolled: 1-line block ×3, first 2 shown]
	v_add_f64 v[26:27], v[10:11], -v[92:93]
	v_add_f64 v[50:51], v[92:93], v[10:11]
	v_add_f64 v[4:5], v[80:81], v[4:5]
	;; [unrolled: 1-line block ×4, first 2 shown]
	s_waitcnt lgkmcnt(0)
	v_add_f64 v[36:37], v[36:37], v[4:5]
	v_add_f64 v[38:39], v[38:39], v[10:11]
	v_mov_b64_e32 v[68:69], v[36:37]
	v_fmac_f64_e32 v[52:53], s[4:5], v[88:89]
	v_fmac_f64_e32 v[56:57], s[4:5], v[90:91]
	;; [unrolled: 1-line block ×3, first 2 shown]
	v_mov_b64_e32 v[4:5], v[38:39]
	v_add_f64 v[58:59], v[86:87], -v[62:63]
	v_fmac_f64_e32 v[98:99], s[4:5], v[90:91]
	v_add_f64 v[0:1], v[6:7], v[56:57]
	v_add_f64 v[2:3], v[8:9], -v[52:53]
	v_add_f64 v[6:7], v[6:7], -v[56:57]
	v_add_f64 v[8:9], v[52:53], v[8:9]
	v_fmac_f64_e32 v[4:5], s[20:21], v[10:11]
	v_add_f64 v[10:11], v[76:77], -v[72:73]
	v_add_f64 v[70:71], v[80:81], -v[76:77]
	;; [unrolled: 1-line block ×4, first 2 shown]
	v_add_f64 v[52:53], v[84:85], v[60:61]
	v_add_f64 v[54:55], v[84:85], -v[60:61]
	v_add_f64 v[56:57], v[86:87], v[62:63]
	v_add_f64 v[62:63], v[62:63], -v[66:67]
	v_mul_f64 v[94:95], v[58:59], s[24:25]
	v_add_f64 v[72:73], v[72:73], -v[80:81]
	v_add_f64 v[74:75], v[74:75], -v[82:83]
	v_fmac_f64_e32 v[96:97], s[4:5], v[88:89]
	v_add_f64 v[40:41], v[44:45], -v[98:99]
	v_add_f64 v[44:45], v[44:45], v[98:99]
	v_add_f64 v[88:89], v[52:53], v[64:65]
	v_mul_f64 v[92:93], v[54:55], s[24:25]
	v_mul_f64 v[52:53], v[70:71], s[0:1]
	;; [unrolled: 1-line block ×3, first 2 shown]
	v_fma_f64 v[98:99], v[62:63], s[10:11], -v[94:95]
	v_add_f64 v[82:83], v[66:67], -v[86:87]
	v_mul_f64 v[72:73], v[72:73], s[14:15]
	v_mul_f64 v[74:75], v[74:75], s[14:15]
	v_mul_f64 v[62:63], v[62:63], s[10:11]
	v_add_f64 v[60:61], v[60:61], -v[64:65]
	v_add_f64 v[90:91], v[56:57], v[66:67]
	v_fma_f64 v[52:53], v[10:11], s[22:23], -v[52:53]
	v_fma_f64 v[54:55], v[76:77], s[22:23], -v[54:55]
	v_add_f64 v[80:81], v[64:65], -v[84:85]
	v_fma_f64 v[10:11], v[10:11], s[16:17], -v[72:73]
	v_fma_f64 v[64:65], v[76:77], s[16:17], -v[74:75]
	;; [unrolled: 1-line block ×3, first 2 shown]
	v_add_f64 v[42:43], v[96:97], v[46:47]
	v_add_f64 v[46:47], v[46:47], -v[96:97]
	v_fma_f64 v[96:97], v[60:61], s[10:11], -v[92:93]
	v_mul_f64 v[60:61], v[60:61], s[10:11]
	v_add_f64 v[10:11], v[10:11], v[68:69]
	v_fmac_f64_e32 v[76:77], s[4:5], v[90:91]
	v_fma_f64 v[66:67], v[80:81], s[18:19], -v[60:61]
	v_add_f64 v[84:85], v[64:65], v[4:5]
	v_add_f64 v[60:61], v[10:11], v[76:77]
	v_add_f64 v[64:65], v[10:11], -v[76:77]
	v_fma_f64 v[10:11], s[0:1], v[70:71], v[72:73]
	v_fmac_f64_e32 v[94:95], s[12:13], v[82:83]
	v_add_f64 v[10:11], v[10:11], v[68:69]
	v_fmac_f64_e32 v[94:95], s[4:5], v[90:91]
	v_add_f64 v[56:57], v[52:53], v[68:69]
	v_fmac_f64_e32 v[74:75], s[0:1], v[78:79]
	v_fma_f64 v[76:77], s[12:13], v[80:81], v[92:93]
	v_add_f64 v[68:69], v[10:11], v[94:95]
	v_add_f64 v[72:73], v[10:11], -v[94:95]
	v_mul_u32_u24_e32 v10, 0x70, v14
	v_add_f64 v[58:59], v[54:55], v[4:5]
	v_fmac_f64_e32 v[96:97], s[4:5], v[88:89]
	v_fmac_f64_e32 v[98:99], s[4:5], v[90:91]
	;; [unrolled: 1-line block ×3, first 2 shown]
	v_add_f64 v[4:5], v[74:75], v[4:5]
	v_fmac_f64_e32 v[76:77], s[4:5], v[88:89]
	v_add3_u32 v10, 0, v10, v29
	v_add_f64 v[52:53], v[56:57], -v[98:99]
	v_add_f64 v[54:55], v[96:97], v[58:59]
	v_add_f64 v[56:57], v[56:57], v[98:99]
	v_add_f64 v[58:59], v[58:59], -v[96:97]
	v_add_f64 v[62:63], v[84:85], -v[66:67]
	v_add_f64 v[66:67], v[66:67], v[84:85]
	v_add_f64 v[70:71], v[4:5], -v[76:77]
	v_add_f64 v[74:75], v[76:77], v[4:5]
	s_waitcnt lgkmcnt(0)
	; wave barrier
	ds_write_b128 v10, v[32:35]
	ds_write_b128 v10, v[24:27] offset:16
	ds_write_b128 v10, v[0:3] offset:32
	;; [unrolled: 1-line block ×13, first 2 shown]
	v_mov_b32_e32 v0, 37
	v_mul_lo_u16_sdwa v1, v14, v0 dst_sel:DWORD dst_unused:UNUSED_PAD src0_sel:BYTE_0 src1_sel:DWORD
	v_sub_u16_sdwa v2, v14, v1 dst_sel:DWORD dst_unused:UNUSED_PAD src0_sel:DWORD src1_sel:BYTE_1
	v_lshrrev_b16_e32 v2, 1, v2
	v_and_b32_e32 v2, 0x7f, v2
	v_add_u16_sdwa v1, v2, v1 dst_sel:DWORD dst_unused:UNUSED_PAD src0_sel:DWORD src1_sel:BYTE_1
	v_lshrrev_b16_e32 v25, 2, v1
	v_mul_lo_u16_e32 v1, 7, v25
	v_or_b32_e32 v5, 16, v14
	v_sub_u16_e32 v1, v14, v1
	v_mov_b32_e32 v6, 4
	v_lshlrev_b32_sdwa v31, v6, v1 dst_sel:DWORD dst_unused:UNUSED_PAD src0_sel:DWORD src1_sel:BYTE_0
	v_mul_lo_u16_sdwa v1, v5, v0 dst_sel:DWORD dst_unused:UNUSED_PAD src0_sel:BYTE_0 src1_sel:DWORD
	v_sub_u16_sdwa v2, v5, v1 dst_sel:DWORD dst_unused:UNUSED_PAD src0_sel:DWORD src1_sel:BYTE_1
	v_lshrrev_b16_e32 v2, 1, v2
	v_and_b32_e32 v2, 0x7f, v2
	v_add_u16_sdwa v1, v2, v1 dst_sel:DWORD dst_unused:UNUSED_PAD src0_sel:DWORD src1_sel:BYTE_1
	v_lshrrev_b16_e32 v88, 2, v1
	s_movk_i32 s0, 0xff
	v_mul_lo_u16_e32 v1, 7, v88
	v_sub_u16_e32 v1, v5, v1
	v_bitop3_b16 v3, v14, s0, 32 bitop3:0xc8
	v_lshlrev_b32_sdwa v89, v6, v1 dst_sel:DWORD dst_unused:UNUSED_PAD src0_sel:DWORD src1_sel:BYTE_0
	v_mul_lo_u16_e32 v1, 37, v3
	v_or_b32_e32 v2, 32, v14
	v_sub_u16_sdwa v7, v2, v1 dst_sel:DWORD dst_unused:UNUSED_PAD src0_sel:DWORD src1_sel:BYTE_1
	v_lshrrev_b16_e32 v7, 1, v7
	v_and_b32_e32 v7, 0x7f, v7
	v_add_u16_sdwa v1, v7, v1 dst_sel:DWORD dst_unused:UNUSED_PAD src0_sel:DWORD src1_sel:BYTE_1
	v_lshrrev_b16_e32 v90, 2, v1
	v_or_b32_e32 v4, 48, v14
	v_mul_lo_u16_e32 v1, 7, v90
	v_sub_u16_e32 v1, v2, v1
	v_mul_lo_u16_sdwa v0, v4, v0 dst_sel:DWORD dst_unused:UNUSED_PAD src0_sel:BYTE_0 src1_sel:DWORD
	v_lshlrev_b32_sdwa v91, v6, v1 dst_sel:DWORD dst_unused:UNUSED_PAD src0_sel:DWORD src1_sel:BYTE_0
	v_sub_u16_sdwa v1, v4, v0 dst_sel:DWORD dst_unused:UNUSED_PAD src0_sel:DWORD src1_sel:BYTE_1
	v_lshrrev_b16_e32 v1, 1, v1
	v_and_b32_e32 v1, 0x7f, v1
	v_add_u16_sdwa v0, v1, v0 dst_sel:DWORD dst_unused:UNUSED_PAD src0_sel:DWORD src1_sel:BYTE_1
	v_lshrrev_b16_e32 v92, 2, v0
	v_mul_lo_u16_e32 v0, 7, v92
	v_sub_u16_e32 v0, v4, v0
	v_bitop3_b16 v8, v14, s0, 64 bitop3:0xc8
	v_lshlrev_b32_sdwa v93, v6, v0 dst_sel:DWORD dst_unused:UNUSED_PAD src0_sel:DWORD src1_sel:BYTE_0
	v_mul_lo_u16_e32 v0, 37, v8
	v_or_b32_e32 v7, 64, v14
	v_sub_u16_sdwa v1, v7, v0 dst_sel:DWORD dst_unused:UNUSED_PAD src0_sel:DWORD src1_sel:BYTE_1
	v_lshrrev_b16_e32 v1, 1, v1
	v_and_b32_e32 v1, 0x7f, v1
	v_add_u16_sdwa v0, v1, v0 dst_sel:DWORD dst_unused:UNUSED_PAD src0_sel:DWORD src1_sel:BYTE_1
	v_lshrrev_b16_e32 v94, 2, v0
	v_mul_lo_u16_e32 v0, 7, v94
	v_sub_u16_e32 v0, v7, v0
	v_lshlrev_b32_sdwa v95, v6, v0 dst_sel:DWORD dst_unused:UNUSED_PAD src0_sel:DWORD src1_sel:BYTE_0
	v_mov_b32_e32 v0, 0x50
	v_bitop3_b16 v10, v14, s0, v0 bitop3:0xc8
	v_mul_lo_u16_e32 v0, 37, v10
	v_or_b32_e32 v9, 0x50, v14
	v_sub_u16_sdwa v1, v9, v0 dst_sel:DWORD dst_unused:UNUSED_PAD src0_sel:DWORD src1_sel:BYTE_1
	v_lshrrev_b16_e32 v1, 1, v1
	v_and_b32_e32 v1, 0x7f, v1
	v_add_u16_sdwa v0, v1, v0 dst_sel:DWORD dst_unused:UNUSED_PAD src0_sel:DWORD src1_sel:BYTE_1
	v_lshrrev_b16_e32 v96, 2, v0
	s_waitcnt lgkmcnt(0)
	; wave barrier
	s_waitcnt lgkmcnt(0)
	global_load_dwordx4 v[32:35], v31, s[8:9]
	global_load_dwordx4 v[36:39], v89, s[8:9]
	v_mul_lo_u16_e32 v0, 7, v96
	v_sub_u16_e32 v0, v9, v0
	v_lshlrev_b32_sdwa v97, v6, v0 dst_sel:DWORD dst_unused:UNUSED_PAD src0_sel:DWORD src1_sel:BYTE_0
	v_mov_b32_e32 v0, 0x60
	v_bitop3_b16 v24, v14, s0, v0 bitop3:0xc8
	global_load_dwordx4 v[40:43], v91, s[8:9]
	global_load_dwordx4 v[44:47], v93, s[8:9]
	v_mul_lo_u16_e32 v0, 37, v24
	v_or_b32_e32 v11, 0x60, v14
	v_sub_u16_sdwa v1, v11, v0 dst_sel:DWORD dst_unused:UNUSED_PAD src0_sel:DWORD src1_sel:BYTE_1
	v_lshrrev_b16_e32 v1, 1, v1
	v_and_b32_e32 v1, 0x7f, v1
	global_load_dwordx4 v[48:51], v95, s[8:9]
	global_load_dwordx4 v[52:55], v97, s[8:9]
	v_add_u16_sdwa v0, v1, v0 dst_sel:DWORD dst_unused:UNUSED_PAD src0_sel:DWORD src1_sel:BYTE_1
	v_lshrrev_b16_e32 v98, 2, v0
	v_mul_lo_u16_e32 v0, 7, v98
	v_sub_u16_e32 v0, v11, v0
	v_lshlrev_b32_sdwa v99, v6, v0 dst_sel:DWORD dst_unused:UNUSED_PAD src0_sel:DWORD src1_sel:BYTE_0
	global_load_dwordx4 v[56:59], v99, s[8:9]
	ds_read_b128 v[60:63], v30 offset:1792
	ds_read_b128 v[64:67], v30 offset:2048
	;; [unrolled: 1-line block ×4, first 2 shown]
	s_movk_i32 s0, 0xe0
	v_lshrrev_b16_e32 v3, 1, v3
	v_mul_lo_u16_e32 v3, 0x93, v3
	s_movk_i32 s4, 0x380
	s_waitcnt vmcnt(6) lgkmcnt(3)
	v_mul_f64 v[0:1], v[62:63], v[34:35]
	v_mul_f64 v[26:27], v[60:61], v[34:35]
	v_fmac_f64_e32 v[0:1], v[60:61], v[32:33]
	v_fma_f64 v[26:27], v[62:63], v[32:33], -v[26:27]
	ds_read_b128 v[32:35], v30 offset:2560
	ds_read_b128 v[60:63], v30 offset:2816
	s_waitcnt vmcnt(5) lgkmcnt(4)
	v_mul_f64 v[76:77], v[66:67], v[38:39]
	v_mul_f64 v[38:39], v[64:65], v[38:39]
	v_fmac_f64_e32 v[76:77], v[64:65], v[36:37]
	v_fma_f64 v[64:65], v[66:67], v[36:37], -v[38:39]
	s_waitcnt vmcnt(4) lgkmcnt(3)
	v_mul_f64 v[66:67], v[70:71], v[42:43]
	v_mul_f64 v[36:37], v[68:69], v[42:43]
	v_fmac_f64_e32 v[66:67], v[68:69], v[40:41]
	v_fma_f64 v[68:69], v[70:71], v[40:41], -v[36:37]
	s_waitcnt vmcnt(3) lgkmcnt(1)
	v_mul_f64 v[70:71], v[34:35], v[46:47]
	v_fmac_f64_e32 v[70:71], v[32:33], v[44:45]
	v_mul_f64 v[32:33], v[32:33], v[46:47]
	v_fma_f64 v[78:79], v[34:35], v[44:45], -v[32:33]
	ds_read_b128 v[32:35], v30 offset:3072
	s_waitcnt vmcnt(2) lgkmcnt(1)
	v_mul_f64 v[80:81], v[62:63], v[50:51]
	v_mul_f64 v[36:37], v[60:61], v[50:51]
	v_fmac_f64_e32 v[80:81], v[60:61], v[48:49]
	v_fma_f64 v[60:61], v[62:63], v[48:49], -v[36:37]
	ds_read_b128 v[36:39], v30 offset:3328
	s_waitcnt vmcnt(1) lgkmcnt(1)
	v_mul_f64 v[62:63], v[34:35], v[54:55]
	v_fmac_f64_e32 v[62:63], v[32:33], v[52:53]
	v_mul_f64 v[32:33], v[32:33], v[54:55]
	v_fma_f64 v[82:83], v[34:35], v[52:53], -v[32:33]
	s_waitcnt vmcnt(0) lgkmcnt(0)
	v_mul_f64 v[84:85], v[38:39], v[58:59]
	ds_read_b128 v[32:35], v19
	v_fmac_f64_e32 v[84:85], v[36:37], v[56:57]
	v_mul_f64 v[36:37], v[36:37], v[58:59]
	v_fma_f64 v[86:87], v[38:39], v[56:57], -v[36:37]
	ds_read_b128 v[36:39], v30 offset:256
	s_waitcnt lgkmcnt(1)
	v_add_f64 v[40:41], v[32:33], -v[0:1]
	v_add_f64 v[42:43], v[34:35], -v[26:27]
	v_mad_u32_u24 v0, v25, s0, 0
	v_fma_f64 v[32:33], v[32:33], 2.0, -v[40:41]
	v_fma_f64 v[34:35], v[34:35], 2.0, -v[42:43]
	v_add3_u32 v0, v0, v31, v29
	ds_read_b128 v[44:47], v30 offset:512
	ds_read_b128 v[48:51], v30 offset:768
	;; [unrolled: 1-line block ×4, first 2 shown]
	s_waitcnt lgkmcnt(0)
	; wave barrier
	s_waitcnt lgkmcnt(0)
	ds_write_b128 v0, v[32:35]
	ds_write_b128 v0, v[40:43] offset:112
	v_add_f64 v[32:33], v[36:37], -v[76:77]
	v_add_f64 v[34:35], v[38:39], -v[64:65]
	v_mad_u32_u24 v0, v88, s0, 0
	v_fma_f64 v[36:37], v[36:37], 2.0, -v[32:33]
	v_fma_f64 v[38:39], v[38:39], 2.0, -v[34:35]
	v_add3_u32 v0, v0, v89, v29
	ds_write_b128 v0, v[36:39]
	ds_write_b128 v0, v[32:35] offset:112
	v_add_f64 v[32:33], v[44:45], -v[66:67]
	v_add_f64 v[34:35], v[46:47], -v[68:69]
	v_mad_u32_u24 v0, v90, s0, 0
	v_fma_f64 v[36:37], v[44:45], 2.0, -v[32:33]
	v_fma_f64 v[38:39], v[46:47], 2.0, -v[34:35]
	v_add3_u32 v0, v0, v91, v29
	v_add_f64 v[40:41], v[48:49], -v[70:71]
	v_add_f64 v[42:43], v[50:51], -v[78:79]
	ds_write_b128 v0, v[36:39]
	ds_write_b128 v0, v[32:35] offset:112
	v_mad_u32_u24 v0, v92, s0, 0
	v_fma_f64 v[44:45], v[48:49], 2.0, -v[40:41]
	v_fma_f64 v[46:47], v[50:51], 2.0, -v[42:43]
	v_add3_u32 v0, v0, v93, v29
	v_add_f64 v[48:49], v[52:53], -v[80:81]
	v_add_f64 v[50:51], v[54:55], -v[60:61]
	ds_write_b128 v0, v[44:47]
	ds_write_b128 v0, v[40:43] offset:112
	;; [unrolled: 8-line block ×4, first 2 shown]
	v_mad_u32_u24 v0, v98, s0, 0
	v_fma_f64 v[68:69], v[72:73], 2.0, -v[64:65]
	v_fma_f64 v[70:71], v[74:75], 2.0, -v[66:67]
	v_add3_u32 v0, v0, v99, v29
	ds_write_b128 v0, v[68:71]
	ds_write_b128 v0, v[64:67] offset:112
	v_add_u32_e32 v0, -14, v14
	v_cmp_gt_u32_e64 s[0:1], 14, v14
	v_mov_b32_e32 v1, v15
	s_waitcnt lgkmcnt(0)
	v_cndmask_b32_e64 v0, v0, v14, s[0:1]
	v_lshl_add_u64 v[26:27], v[0:1], 4, s[8:9]
	v_mov_b32_e32 v1, 1
	v_lshrrev_b16_sdwa v25, v1, v5 dst_sel:DWORD dst_unused:UNUSED_PAD src0_sel:DWORD src1_sel:BYTE_0
	v_lshrrev_b16_sdwa v1, v1, v4 dst_sel:DWORD dst_unused:UNUSED_PAD src0_sel:DWORD src1_sel:BYTE_0
	v_mul_lo_u16_e32 v1, 0x93, v1
	v_lshrrev_b16_e32 v90, 10, v1
	v_mul_lo_u16_e32 v1, 14, v90
	v_mul_lo_u16_e32 v25, 0x93, v25
	v_sub_u16_e32 v1, v4, v1
	v_lshrrev_b16_e32 v25, 10, v25
	v_lshlrev_b32_sdwa v91, v6, v1 dst_sel:DWORD dst_unused:UNUSED_PAD src0_sel:DWORD src1_sel:BYTE_0
	v_lshrrev_b16_e32 v1, 1, v8
	v_mul_lo_u16_e32 v31, 14, v25
	v_mul_lo_u16_e32 v1, 0x93, v1
	v_sub_u16_e32 v31, v5, v31
	v_lshrrev_b16_e32 v92, 10, v1
	; wave barrier
	v_lshlrev_b32_sdwa v31, v6, v31 dst_sel:DWORD dst_unused:UNUSED_PAD src0_sel:DWORD src1_sel:BYTE_0
	global_load_dwordx4 v[32:35], v[26:27], off offset:112
	global_load_dwordx4 v[36:39], v31, s[8:9] offset:112
	v_lshrrev_b16_e32 v88, 10, v3
	v_mul_lo_u16_e32 v1, 14, v92
	v_mul_lo_u16_e32 v3, 14, v88
	v_sub_u16_e32 v1, v7, v1
	v_sub_u16_e32 v2, v2, v3
	v_lshlrev_b32_sdwa v93, v6, v1 dst_sel:DWORD dst_unused:UNUSED_PAD src0_sel:DWORD src1_sel:BYTE_0
	v_lshrrev_b16_e32 v1, 1, v10
	v_lshlrev_b32_sdwa v89, v6, v2 dst_sel:DWORD dst_unused:UNUSED_PAD src0_sel:DWORD src1_sel:BYTE_0
	v_mul_lo_u16_e32 v1, 0x93, v1
	global_load_dwordx4 v[40:43], v89, s[8:9] offset:112
	global_load_dwordx4 v[44:47], v91, s[8:9] offset:112
	v_lshrrev_b16_e32 v94, 10, v1
	v_mul_lo_u16_e32 v1, 14, v94
	v_sub_u16_e32 v1, v9, v1
	global_load_dwordx4 v[48:51], v93, s[8:9] offset:112
	v_lshlrev_b32_sdwa v95, v6, v1 dst_sel:DWORD dst_unused:UNUSED_PAD src0_sel:DWORD src1_sel:BYTE_0
	global_load_dwordx4 v[52:55], v95, s[8:9] offset:112
	v_lshrrev_b16_e32 v1, 1, v24
	v_mul_lo_u16_e32 v1, 0x93, v1
	v_lshrrev_b16_e32 v96, 10, v1
	v_mul_lo_u16_e32 v1, 14, v96
	v_sub_u16_e32 v1, v11, v1
	v_lshlrev_b32_sdwa v97, v6, v1 dst_sel:DWORD dst_unused:UNUSED_PAD src0_sel:DWORD src1_sel:BYTE_0
	global_load_dwordx4 v[56:59], v97, s[8:9] offset:112
	ds_read_b128 v[60:63], v30 offset:1792
	ds_read_b128 v[64:67], v30 offset:2048
	;; [unrolled: 1-line block ×4, first 2 shown]
	v_mov_b32_e32 v1, 0x1c0
	v_cmp_lt_u32_e64 s[0:1], 13, v14
	v_lshlrev_b32_e32 v0, 4, v0
	v_lshrrev_b16_e32 v8, 2, v8
	v_cndmask_b32_e64 v1, 0, v1, s[0:1]
	v_add_u32_e32 v1, 0, v1
	s_movk_i32 s0, 0x1c0
	v_mad_u32_u24 v25, v25, s0, 0
	v_add3_u32 v25, v25, v31, v29
	v_mul_lo_u16_e32 v8, 37, v8
	s_waitcnt vmcnt(6) lgkmcnt(3)
	v_mul_f64 v[2:3], v[62:63], v[34:35]
	v_mul_f64 v[26:27], v[60:61], v[34:35]
	v_fmac_f64_e32 v[2:3], v[60:61], v[32:33]
	v_fma_f64 v[26:27], v[62:63], v[32:33], -v[26:27]
	ds_read_b128 v[32:35], v30 offset:2560
	ds_read_b128 v[60:63], v30 offset:2816
	s_waitcnt vmcnt(5) lgkmcnt(4)
	v_mul_f64 v[76:77], v[66:67], v[38:39]
	v_mul_f64 v[38:39], v[64:65], v[38:39]
	v_fmac_f64_e32 v[76:77], v[64:65], v[36:37]
	v_fma_f64 v[64:65], v[66:67], v[36:37], -v[38:39]
	s_waitcnt vmcnt(4) lgkmcnt(3)
	v_mul_f64 v[66:67], v[70:71], v[42:43]
	v_mul_f64 v[36:37], v[68:69], v[42:43]
	v_fmac_f64_e32 v[66:67], v[68:69], v[40:41]
	v_fma_f64 v[68:69], v[70:71], v[40:41], -v[36:37]
	s_waitcnt vmcnt(3) lgkmcnt(1)
	v_mul_f64 v[70:71], v[34:35], v[46:47]
	v_fmac_f64_e32 v[70:71], v[32:33], v[44:45]
	v_mul_f64 v[32:33], v[32:33], v[46:47]
	v_fma_f64 v[78:79], v[34:35], v[44:45], -v[32:33]
	ds_read_b128 v[32:35], v30 offset:3072
	s_waitcnt vmcnt(2) lgkmcnt(1)
	v_mul_f64 v[80:81], v[62:63], v[50:51]
	v_mul_f64 v[36:37], v[60:61], v[50:51]
	v_fmac_f64_e32 v[80:81], v[60:61], v[48:49]
	v_fma_f64 v[60:61], v[62:63], v[48:49], -v[36:37]
	ds_read_b128 v[36:39], v30 offset:3328
	s_waitcnt vmcnt(1) lgkmcnt(1)
	v_mul_f64 v[62:63], v[34:35], v[54:55]
	v_fmac_f64_e32 v[62:63], v[32:33], v[52:53]
	v_mul_f64 v[32:33], v[32:33], v[54:55]
	v_fma_f64 v[82:83], v[34:35], v[52:53], -v[32:33]
	s_waitcnt vmcnt(0) lgkmcnt(0)
	v_mul_f64 v[84:85], v[38:39], v[58:59]
	ds_read_b128 v[32:35], v19
	v_fmac_f64_e32 v[84:85], v[36:37], v[56:57]
	v_mul_f64 v[36:37], v[36:37], v[58:59]
	v_fma_f64 v[86:87], v[38:39], v[56:57], -v[36:37]
	ds_read_b128 v[36:39], v30 offset:256
	s_waitcnt lgkmcnt(1)
	v_add_f64 v[40:41], v[32:33], -v[2:3]
	v_add_f64 v[42:43], v[34:35], -v[26:27]
	v_fma_f64 v[32:33], v[32:33], 2.0, -v[40:41]
	v_fma_f64 v[34:35], v[34:35], 2.0, -v[42:43]
	v_add3_u32 v26, v1, v0, v29
	ds_read_b128 v[0:3], v30 offset:512
	ds_read_b128 v[44:47], v30 offset:768
	;; [unrolled: 1-line block ×4, first 2 shown]
	s_waitcnt lgkmcnt(0)
	; wave barrier
	s_waitcnt lgkmcnt(0)
	ds_write_b128 v26, v[32:35]
	ds_write_b128 v26, v[40:43] offset:224
	v_add_f64 v[32:33], v[36:37], -v[76:77]
	v_add_f64 v[34:35], v[38:39], -v[64:65]
	v_fma_f64 v[36:37], v[36:37], 2.0, -v[32:33]
	v_fma_f64 v[38:39], v[38:39], 2.0, -v[34:35]
	ds_write_b128 v25, v[36:39]
	ds_write_b128 v25, v[32:35] offset:224
	v_add_f64 v[32:33], v[0:1], -v[66:67]
	v_add_f64 v[34:35], v[2:3], -v[68:69]
	v_mad_u32_u24 v25, v88, s0, 0
	v_fma_f64 v[0:1], v[0:1], 2.0, -v[32:33]
	v_fma_f64 v[2:3], v[2:3], 2.0, -v[34:35]
	v_add3_u32 v25, v25, v89, v29
	v_add_f64 v[36:37], v[44:45], -v[70:71]
	v_add_f64 v[38:39], v[46:47], -v[78:79]
	ds_write_b128 v25, v[0:3]
	ds_write_b128 v25, v[32:35] offset:224
	v_mad_u32_u24 v0, v90, s0, 0
	v_fma_f64 v[40:41], v[44:45], 2.0, -v[36:37]
	v_fma_f64 v[42:43], v[46:47], 2.0, -v[38:39]
	v_add3_u32 v0, v0, v91, v29
	v_add_f64 v[44:45], v[48:49], -v[80:81]
	v_add_f64 v[46:47], v[50:51], -v[60:61]
	ds_write_b128 v0, v[40:43]
	ds_write_b128 v0, v[36:39] offset:224
	;; [unrolled: 8-line block ×4, first 2 shown]
	v_mad_u32_u24 v0, v96, s0, 0
	v_fma_f64 v[64:65], v[72:73], 2.0, -v[60:61]
	v_fma_f64 v[66:67], v[74:75], 2.0, -v[62:63]
	v_add3_u32 v0, v0, v97, v29
	ds_write_b128 v0, v[64:67]
	ds_write_b128 v0, v[60:63] offset:224
	v_add_u32_e32 v0, -12, v14
	v_cmp_gt_u32_e64 s[0:1], 28, v5
	v_mov_b32_e32 v3, v15
	s_waitcnt lgkmcnt(0)
	v_cndmask_b32_e64 v2, v0, v5, s[0:1]
	v_lshl_add_u64 v[26:27], v[2:3], 4, s[8:9]
	v_mov_b32_e32 v3, 2
	v_lshrrev_b16_sdwa v3, v3, v4 dst_sel:DWORD dst_unused:UNUSED_PAD src0_sel:DWORD src1_sel:BYTE_0
	; wave barrier
	global_load_dwordx4 v[32:35], v[20:21], off offset:336
	v_mul_lo_u16_e32 v3, 37, v3
	v_lshrrev_b16_e32 v3, 8, v3
	v_lshl_add_u64 v[0:1], s[8:9], 0, v[22:23]
	v_mul_lo_u16_e32 v22, 28, v3
	global_load_dwordx4 v[36:39], v[26:27], off offset:336
	global_load_dwordx4 v[40:43], v[0:1], off offset:400
	v_sub_u16_e32 v22, v4, v22
	v_lshlrev_b32_sdwa v31, v6, v22 dst_sel:DWORD dst_unused:UNUSED_PAD src0_sel:DWORD src1_sel:BYTE_0
	v_mov_b32_e32 v22, 28
	v_mul_lo_u16_sdwa v8, v8, v22 dst_sel:DWORD dst_unused:UNUSED_PAD src0_sel:BYTE_1 src1_sel:DWORD
	v_sub_u16_e32 v7, v7, v8
	global_load_dwordx4 v[44:47], v31, s[8:9] offset:336
	v_lshlrev_b32_sdwa v84, v6, v7 dst_sel:DWORD dst_unused:UNUSED_PAD src0_sel:DWORD src1_sel:BYTE_0
	global_load_dwordx4 v[48:51], v84, s[8:9] offset:336
	v_lshrrev_b16_e32 v7, 2, v10
	v_mul_lo_u16_e32 v7, 37, v7
	v_lshrrev_b16_e32 v85, 8, v7
	v_mul_lo_u16_e32 v7, 28, v85
	v_sub_u16_e32 v7, v9, v7
	v_lshlrev_b32_sdwa v86, v6, v7 dst_sel:DWORD dst_unused:UNUSED_PAD src0_sel:DWORD src1_sel:BYTE_0
	global_load_dwordx4 v[52:55], v86, s[8:9] offset:336
	v_lshrrev_b16_e32 v7, 2, v24
	v_mul_lo_u16_e32 v7, 37, v7
	v_mul_lo_u16_sdwa v7, v7, v22 dst_sel:DWORD dst_unused:UNUSED_PAD src0_sel:BYTE_1 src1_sel:DWORD
	v_sub_u16_e32 v7, v11, v7
	v_lshlrev_b32_sdwa v87, v6, v7 dst_sel:DWORD dst_unused:UNUSED_PAD src0_sel:DWORD src1_sel:BYTE_0
	global_load_dwordx4 v[6:9], v87, s[8:9] offset:336
	ds_read_b128 v[22:25], v30 offset:1792
	ds_read_b128 v[56:59], v30 offset:2048
	;; [unrolled: 1-line block ×4, first 2 shown]
	v_cmp_lt_u32_e64 s[0:1], 27, v5
	v_lshlrev_b32_e32 v2, 4, v2
	s_waitcnt vmcnt(6) lgkmcnt(3)
	v_mul_f64 v[10:11], v[24:25], v[34:35]
	v_fmac_f64_e32 v[10:11], v[22:23], v[32:33]
	v_mul_f64 v[22:23], v[22:23], v[34:35]
	v_fma_f64 v[26:27], v[24:25], v[32:33], -v[22:23]
	s_waitcnt vmcnt(5) lgkmcnt(2)
	v_mul_f64 v[68:69], v[58:59], v[38:39]
	v_mul_f64 v[22:23], v[56:57], v[38:39]
	v_fmac_f64_e32 v[68:69], v[56:57], v[36:37]
	v_fma_f64 v[56:57], v[58:59], v[36:37], -v[22:23]
	ds_read_b128 v[22:25], v30 offset:2560
	ds_read_b128 v[32:35], v30 offset:2816
	s_waitcnt vmcnt(4) lgkmcnt(3)
	v_mul_f64 v[58:59], v[62:63], v[42:43]
	v_mul_f64 v[36:37], v[60:61], v[42:43]
	v_fmac_f64_e32 v[58:59], v[60:61], v[40:41]
	v_fma_f64 v[60:61], v[62:63], v[40:41], -v[36:37]
	s_waitcnt vmcnt(3) lgkmcnt(1)
	v_mul_f64 v[62:63], v[24:25], v[46:47]
	v_fmac_f64_e32 v[62:63], v[22:23], v[44:45]
	v_mul_f64 v[22:23], v[22:23], v[46:47]
	v_fma_f64 v[70:71], v[24:25], v[44:45], -v[22:23]
	ds_read_b128 v[22:25], v30 offset:3072
	ds_read_b128 v[36:39], v30 offset:3328
	s_waitcnt vmcnt(2) lgkmcnt(2)
	v_mul_f64 v[72:73], v[34:35], v[50:51]
	v_fmac_f64_e32 v[72:73], v[32:33], v[48:49]
	v_mul_f64 v[32:33], v[32:33], v[50:51]
	s_waitcnt vmcnt(1) lgkmcnt(1)
	v_mul_f64 v[76:77], v[24:25], v[54:55]
	v_fmac_f64_e32 v[76:77], v[22:23], v[52:53]
	v_mul_f64 v[22:23], v[22:23], v[54:55]
	v_fma_f64 v[74:75], v[34:35], v[48:49], -v[32:33]
	v_fma_f64 v[78:79], v[24:25], v[52:53], -v[22:23]
	ds_read_b128 v[22:25], v19
	ds_read_b128 v[32:35], v30 offset:256
	ds_read_b128 v[40:43], v30 offset:512
	ds_read_b128 v[44:47], v30 offset:768
	s_waitcnt vmcnt(0) lgkmcnt(4)
	v_mul_f64 v[80:81], v[38:39], v[8:9]
	v_mul_f64 v[8:9], v[36:37], v[8:9]
	v_fmac_f64_e32 v[80:81], v[36:37], v[6:7]
	v_fma_f64 v[82:83], v[38:39], v[6:7], -v[8:9]
	s_waitcnt lgkmcnt(3)
	v_add_f64 v[6:7], v[22:23], -v[10:11]
	v_add_f64 v[8:9], v[24:25], -v[26:27]
	v_fma_f64 v[22:23], v[22:23], 2.0, -v[6:7]
	v_fma_f64 v[24:25], v[24:25], 2.0, -v[8:9]
	s_waitcnt lgkmcnt(2)
	v_add_f64 v[38:39], v[34:35], -v[56:57]
	s_waitcnt lgkmcnt(1)
	v_add_f64 v[48:49], v[40:41], -v[58:59]
	v_add_f64 v[50:51], v[42:43], -v[60:61]
	s_waitcnt lgkmcnt(0)
	v_add_f64 v[52:53], v[44:45], -v[62:63]
	ds_read_b128 v[56:59], v30 offset:1024
	ds_read_b128 v[60:63], v30 offset:1280
	s_waitcnt lgkmcnt(0)
	; wave barrier
	s_waitcnt lgkmcnt(0)
	ds_write_b128 v30, v[22:25]
	ds_write_b128 v30, v[6:9] offset:448
	v_mov_b32_e32 v6, 0x380
	v_cndmask_b32_e64 v5, 0, v6, s[0:1]
	v_add_f64 v[36:37], v[32:33], -v[68:69]
	v_add_u32_e32 v5, 0, v5
	v_fma_f64 v[32:33], v[32:33], 2.0, -v[36:37]
	v_fma_f64 v[34:35], v[34:35], 2.0, -v[38:39]
	v_add3_u32 v2, v5, v2, v29
	v_fma_f64 v[40:41], v[40:41], 2.0, -v[48:49]
	v_fma_f64 v[42:43], v[42:43], 2.0, -v[50:51]
	v_add_f64 v[54:55], v[46:47], -v[70:71]
	ds_write_b128 v2, v[32:35]
	ds_write_b128 v2, v[36:39] offset:448
	ds_write_b128 v30, v[40:43] offset:960
	ds_write_b128 v30, v[48:51] offset:1408
	v_mad_u32_u24 v2, v3, s4, 0
	v_fma_f64 v[44:45], v[44:45], 2.0, -v[52:53]
	v_fma_f64 v[46:47], v[46:47], 2.0, -v[54:55]
	v_add_f64 v[68:69], v[56:57], -v[72:73]
	v_add_f64 v[70:71], v[58:59], -v[74:75]
	v_add3_u32 v2, v2, v31, v29
	v_fma_f64 v[56:57], v[56:57], 2.0, -v[68:69]
	v_fma_f64 v[58:59], v[58:59], 2.0, -v[70:71]
	ds_write_b128 v2, v[44:47]
	ds_write_b128 v2, v[52:55] offset:448
	v_add3_u32 v2, 0, v84, v29
	v_add_f64 v[72:73], v[60:61], -v[76:77]
	v_add_f64 v[74:75], v[62:63], -v[78:79]
	ds_write_b128 v2, v[56:59] offset:1792
	ds_write_b128 v2, v[68:71] offset:2240
	v_mad_u32_u24 v2, v85, s4, 0
	v_fma_f64 v[60:61], v[60:61], 2.0, -v[72:73]
	v_fma_f64 v[62:63], v[62:63], 2.0, -v[74:75]
	v_add_f64 v[76:77], v[64:65], -v[80:81]
	v_add_f64 v[78:79], v[66:67], -v[82:83]
	v_add3_u32 v2, v2, v86, v29
	v_fma_f64 v[64:65], v[64:65], 2.0, -v[76:77]
	v_fma_f64 v[66:67], v[66:67], 2.0, -v[78:79]
	ds_write_b128 v2, v[60:63]
	ds_write_b128 v2, v[72:75] offset:448
	v_add3_u32 v2, 0, v87, v29
	ds_write_b128 v2, v[64:67] offset:2688
	ds_write_b128 v2, v[76:79] offset:3136
	s_waitcnt lgkmcnt(0)
	; wave barrier
	s_waitcnt lgkmcnt(0)
	global_load_dwordx4 v[6:9], v[20:21], off offset:784
	global_load_dwordx4 v[22:25], v[0:1], off offset:1040
	;; [unrolled: 1-line block ×3, first 2 shown]
	v_add_u32_e32 v2, -8, v14
	v_cmp_gt_u32_e64 s[0:1], 56, v4
	s_nop 1
	v_cndmask_b32_e64 v14, v2, v4, s[0:1]
	v_lshl_add_u64 v[2:3], v[14:15], 4, s[8:9]
	global_load_dwordx4 v[36:39], v[2:3], off offset:784
	global_load_dwordx4 v[40:43], v[0:1], off offset:912
	;; [unrolled: 1-line block ×4, first 2 shown]
	ds_read_b128 v[52:55], v30 offset:1792
	ds_read_b128 v[56:59], v19
	ds_read_b128 v[60:63], v30 offset:256
	ds_read_b128 v[64:67], v30 offset:2048
	;; [unrolled: 1-line block ×4, first 2 shown]
	v_cmp_lt_u32_e64 s[0:1], 55, v4
	s_waitcnt vmcnt(6) lgkmcnt(5)
	v_mul_f64 v[2:3], v[54:55], v[8:9]
	v_mul_f64 v[8:9], v[52:53], v[8:9]
	v_fmac_f64_e32 v[2:3], v[52:53], v[6:7]
	v_fma_f64 v[10:11], v[54:55], v[6:7], -v[8:9]
	s_waitcnt vmcnt(5) lgkmcnt(2)
	v_mul_f64 v[26:27], v[66:67], v[24:25]
	v_mul_f64 v[6:7], v[64:65], v[24:25]
	v_fmac_f64_e32 v[26:27], v[64:65], v[22:23]
	v_fma_f64 v[52:53], v[66:67], v[22:23], -v[6:7]
	ds_read_b128 v[6:9], v30 offset:2560
	ds_read_b128 v[22:25], v30 offset:2816
	s_waitcnt vmcnt(4) lgkmcnt(3)
	v_mul_f64 v[54:55], v[70:71], v[34:35]
	v_mul_f64 v[34:35], v[68:69], v[34:35]
	v_fmac_f64_e32 v[54:55], v[68:69], v[32:33]
	s_waitcnt vmcnt(3) lgkmcnt(1)
	v_mul_f64 v[66:67], v[8:9], v[38:39]
	v_fmac_f64_e32 v[66:67], v[6:7], v[36:37]
	v_mul_f64 v[6:7], v[6:7], v[38:39]
	v_fma_f64 v[64:65], v[70:71], v[32:33], -v[34:35]
	v_fma_f64 v[68:69], v[8:9], v[36:37], -v[6:7]
	ds_read_b128 v[6:9], v30 offset:3072
	ds_read_b128 v[32:35], v30 offset:3328
	s_waitcnt vmcnt(2) lgkmcnt(2)
	v_mul_f64 v[70:71], v[24:25], v[42:43]
	v_fmac_f64_e32 v[70:71], v[22:23], v[40:41]
	v_mul_f64 v[22:23], v[22:23], v[42:43]
	s_waitcnt vmcnt(1) lgkmcnt(1)
	v_mul_f64 v[78:79], v[8:9], v[46:47]
	s_waitcnt vmcnt(0) lgkmcnt(0)
	v_mul_f64 v[82:83], v[34:35], v[50:51]
	v_fmac_f64_e32 v[78:79], v[6:7], v[44:45]
	v_mul_f64 v[6:7], v[6:7], v[46:47]
	v_fmac_f64_e32 v[82:83], v[32:33], v[48:49]
	v_mul_f64 v[32:33], v[32:33], v[50:51]
	v_fma_f64 v[76:77], v[24:25], v[40:41], -v[22:23]
	v_fma_f64 v[80:81], v[8:9], v[44:45], -v[6:7]
	ds_read_b128 v[6:9], v30 offset:512
	ds_read_b128 v[22:25], v30 offset:768
	v_fma_f64 v[84:85], v[34:35], v[48:49], -v[32:33]
	v_add_f64 v[32:33], v[56:57], -v[2:3]
	v_add_f64 v[34:35], v[58:59], -v[10:11]
	;; [unrolled: 1-line block ×4, first 2 shown]
	v_fma_f64 v[36:37], v[56:57], 2.0, -v[32:33]
	v_fma_f64 v[38:39], v[58:59], 2.0, -v[34:35]
	;; [unrolled: 1-line block ×4, first 2 shown]
	ds_read_b128 v[56:59], v30 offset:1024
	ds_read_b128 v[60:63], v30 offset:1280
	v_mov_b32_e32 v2, 0x700
	v_cndmask_b32_e64 v2, 0, v2, s[0:1]
	s_waitcnt lgkmcnt(3)
	v_add_f64 v[48:49], v[6:7], -v[54:55]
	v_add_f64 v[50:51], v[8:9], -v[64:65]
	s_waitcnt lgkmcnt(2)
	v_add_f64 v[52:53], v[22:23], -v[66:67]
	v_add_f64 v[54:55], v[24:25], -v[68:69]
	v_add_u32_e32 v2, 0, v2
	v_lshlrev_b32_e32 v3, 4, v14
	v_fma_f64 v[6:7], v[6:7], 2.0, -v[48:49]
	v_fma_f64 v[8:9], v[8:9], 2.0, -v[50:51]
	;; [unrolled: 1-line block ×4, first 2 shown]
	s_waitcnt lgkmcnt(1)
	v_add_f64 v[64:65], v[56:57], -v[70:71]
	v_add_f64 v[66:67], v[58:59], -v[76:77]
	s_waitcnt lgkmcnt(0)
	v_add_f64 v[68:69], v[60:61], -v[78:79]
	v_add_f64 v[70:71], v[62:63], -v[80:81]
	;; [unrolled: 1-line block ×4, first 2 shown]
	v_add3_u32 v2, v2, v3, v29
	v_fma_f64 v[56:57], v[56:57], 2.0, -v[64:65]
	v_fma_f64 v[58:59], v[58:59], 2.0, -v[66:67]
	;; [unrolled: 1-line block ×6, first 2 shown]
	s_waitcnt lgkmcnt(0)
	; wave barrier
	ds_write_b128 v30, v[36:39]
	ds_write_b128 v30, v[32:35] offset:896
	ds_write_b128 v30, v[44:47] offset:256
	;; [unrolled: 1-line block ×5, first 2 shown]
	ds_write_b128 v2, v[22:25]
	ds_write_b128 v2, v[52:55] offset:896
	ds_write_b128 v30, v[56:59] offset:1920
	;; [unrolled: 1-line block ×7, first 2 shown]
	s_waitcnt lgkmcnt(0)
	; wave barrier
	s_waitcnt lgkmcnt(0)
	global_load_dwordx4 v[2:5], v[20:21], off offset:1680
	global_load_dwordx4 v[6:9], v[0:1], off offset:1936
	;; [unrolled: 1-line block ×7, first 2 shown]
	ds_read_b128 v[48:51], v30 offset:1792
	ds_read_b128 v[52:55], v19
	ds_read_b128 v[56:59], v30 offset:256
	ds_read_b128 v[60:63], v30 offset:2048
	;; [unrolled: 1-line block ×6, first 2 shown]
	s_waitcnt vmcnt(6) lgkmcnt(7)
	v_mul_f64 v[20:21], v[50:51], v[4:5]
	v_mul_f64 v[0:1], v[48:49], v[4:5]
	v_fmac_f64_e32 v[20:21], v[48:49], v[2:3]
	v_fma_f64 v[26:27], v[50:51], v[2:3], -v[0:1]
	s_waitcnt vmcnt(5) lgkmcnt(4)
	v_mul_f64 v[48:49], v[62:63], v[8:9]
	v_mul_f64 v[0:1], v[60:61], v[8:9]
	v_fmac_f64_e32 v[48:49], v[60:61], v[6:7]
	v_fma_f64 v[50:51], v[62:63], v[6:7], -v[0:1]
	ds_read_b128 v[0:3], v30 offset:2560
	ds_read_b128 v[4:7], v30 offset:2816
	s_waitcnt vmcnt(4) lgkmcnt(5)
	v_mul_f64 v[60:61], v[66:67], v[24:25]
	v_fmac_f64_e32 v[60:61], v[64:65], v[22:23]
	v_mul_f64 v[8:9], v[64:65], v[24:25]
	s_waitcnt vmcnt(3) lgkmcnt(1)
	v_mul_f64 v[64:65], v[2:3], v[34:35]
	v_fmac_f64_e32 v[64:65], v[0:1], v[32:33]
	v_mul_f64 v[0:1], v[0:1], v[34:35]
	v_fma_f64 v[62:63], v[66:67], v[22:23], -v[8:9]
	v_fma_f64 v[66:67], v[2:3], v[32:33], -v[0:1]
	ds_read_b128 v[0:3], v30 offset:3072
	ds_read_b128 v[8:11], v30 offset:3328
	s_waitcnt vmcnt(2) lgkmcnt(2)
	v_mul_f64 v[80:81], v[6:7], v[38:39]
	v_fmac_f64_e32 v[80:81], v[4:5], v[36:37]
	v_mul_f64 v[4:5], v[4:5], v[38:39]
	s_waitcnt vmcnt(1) lgkmcnt(1)
	v_mul_f64 v[84:85], v[2:3], v[42:43]
	v_fmac_f64_e32 v[84:85], v[0:1], v[40:41]
	v_mul_f64 v[0:1], v[0:1], v[42:43]
	v_fma_f64 v[82:83], v[6:7], v[36:37], -v[4:5]
	v_fma_f64 v[86:87], v[2:3], v[40:41], -v[0:1]
	ds_read_b128 v[0:3], v30 offset:1024
	ds_read_b128 v[4:7], v30 offset:1280
	s_waitcnt vmcnt(0) lgkmcnt(2)
	v_mul_f64 v[88:89], v[10:11], v[46:47]
	v_fmac_f64_e32 v[88:89], v[8:9], v[44:45]
	v_mul_f64 v[8:9], v[8:9], v[46:47]
	v_fma_f64 v[90:91], v[10:11], v[44:45], -v[8:9]
	v_add_f64 v[8:9], v[52:53], -v[20:21]
	v_add_f64 v[10:11], v[54:55], -v[26:27]
	;; [unrolled: 1-line block ×4, first 2 shown]
	v_fma_f64 v[20:21], v[52:53], 2.0, -v[8:9]
	v_fma_f64 v[22:23], v[54:55], 2.0, -v[10:11]
	;; [unrolled: 1-line block ×4, first 2 shown]
	v_add_f64 v[36:37], v[68:69], -v[60:61]
	v_add_f64 v[38:39], v[70:71], -v[62:63]
	;; [unrolled: 1-line block ×4, first 2 shown]
	s_waitcnt lgkmcnt(1)
	v_add_f64 v[52:53], v[0:1], -v[80:81]
	v_add_f64 v[54:55], v[2:3], -v[82:83]
	s_waitcnt lgkmcnt(0)
	v_add_f64 v[56:57], v[4:5], -v[84:85]
	v_add_f64 v[58:59], v[6:7], -v[86:87]
	;; [unrolled: 1-line block ×4, first 2 shown]
	v_fma_f64 v[40:41], v[68:69], 2.0, -v[36:37]
	v_fma_f64 v[42:43], v[70:71], 2.0, -v[38:39]
	;; [unrolled: 1-line block ×10, first 2 shown]
	s_waitcnt lgkmcnt(0)
	; wave barrier
	ds_write_b128 v30, v[20:23]
	ds_write_b128 v30, v[8:11] offset:1792
	ds_write_b128 v30, v[32:35] offset:256
	;; [unrolled: 1-line block ×13, first 2 shown]
	s_waitcnt lgkmcnt(0)
	; wave barrier
	s_waitcnt lgkmcnt(0)
	s_and_saveexec_b64 s[0:1], vcc
	s_cbranch_execz .LBB0_21
; %bb.20:
	v_mul_lo_u32 v0, s3, v16
	v_mul_lo_u32 v1, s2, v17
	v_mad_u64_u32 v[4:5], s[0:1], s2, v16, 0
	v_add3_u32 v5, v5, v1, v0
	v_lshl_add_u32 v16, v18, 4, v28
	ds_read_b128 v[0:3], v16
	v_lshl_add_u64 v[4:5], v[4:5], 4, s[6:7]
	v_lshl_add_u64 v[8:9], v[12:13], 4, v[4:5]
	ds_read_b128 v[4:7], v16 offset:256
	v_mov_b32_e32 v19, v15
	v_lshl_add_u64 v[10:11], v[18:19], 4, v[8:9]
	v_add_u32_e32 v14, 16, v18
	s_waitcnt lgkmcnt(1)
	global_store_dwordx4 v[10:11], v[0:3], off
	v_lshl_add_u64 v[10:11], v[14:15], 4, v[8:9]
	ds_read_b128 v[0:3], v16 offset:512
	s_waitcnt lgkmcnt(1)
	global_store_dwordx4 v[10:11], v[4:7], off
	ds_read_b128 v[4:7], v16 offset:768
	v_add_u32_e32 v14, 32, v18
	v_lshl_add_u64 v[10:11], v[14:15], 4, v[8:9]
	v_add_u32_e32 v14, 48, v18
	s_waitcnt lgkmcnt(1)
	global_store_dwordx4 v[10:11], v[0:3], off
	v_lshl_add_u64 v[10:11], v[14:15], 4, v[8:9]
	ds_read_b128 v[0:3], v16 offset:1024
	s_waitcnt lgkmcnt(1)
	global_store_dwordx4 v[10:11], v[4:7], off
	ds_read_b128 v[4:7], v16 offset:1280
	v_add_u32_e32 v14, 64, v18
	;; [unrolled: 10-line block ×6, first 2 shown]
	v_lshl_add_u64 v[10:11], v[14:15], 4, v[8:9]
	v_add_u32_e32 v14, 0xd0, v18
	s_waitcnt lgkmcnt(1)
	global_store_dwordx4 v[10:11], v[0:3], off
	s_nop 1
	v_lshl_add_u64 v[0:1], v[14:15], 4, v[8:9]
	s_waitcnt lgkmcnt(0)
	global_store_dwordx4 v[0:1], v[4:7], off
.LBB0_21:
	s_endpgm
	.section	.rodata,"a",@progbits
	.p2align	6, 0x0
	.amdhsa_kernel fft_rtc_back_len224_factors_7_2_2_2_2_2_wgs_64_tpt_16_halfLds_dp_op_CI_CI_unitstride_sbrr_C2R_dirReg
		.amdhsa_group_segment_fixed_size 0
		.amdhsa_private_segment_fixed_size 0
		.amdhsa_kernarg_size 104
		.amdhsa_user_sgpr_count 2
		.amdhsa_user_sgpr_dispatch_ptr 0
		.amdhsa_user_sgpr_queue_ptr 0
		.amdhsa_user_sgpr_kernarg_segment_ptr 1
		.amdhsa_user_sgpr_dispatch_id 0
		.amdhsa_user_sgpr_kernarg_preload_length 0
		.amdhsa_user_sgpr_kernarg_preload_offset 0
		.amdhsa_user_sgpr_private_segment_size 0
		.amdhsa_uses_dynamic_stack 0
		.amdhsa_enable_private_segment 0
		.amdhsa_system_sgpr_workgroup_id_x 1
		.amdhsa_system_sgpr_workgroup_id_y 0
		.amdhsa_system_sgpr_workgroup_id_z 0
		.amdhsa_system_sgpr_workgroup_info 0
		.amdhsa_system_vgpr_workitem_id 0
		.amdhsa_next_free_vgpr 100
		.amdhsa_next_free_sgpr 28
		.amdhsa_accum_offset 100
		.amdhsa_reserve_vcc 1
		.amdhsa_float_round_mode_32 0
		.amdhsa_float_round_mode_16_64 0
		.amdhsa_float_denorm_mode_32 3
		.amdhsa_float_denorm_mode_16_64 3
		.amdhsa_dx10_clamp 1
		.amdhsa_ieee_mode 1
		.amdhsa_fp16_overflow 0
		.amdhsa_tg_split 0
		.amdhsa_exception_fp_ieee_invalid_op 0
		.amdhsa_exception_fp_denorm_src 0
		.amdhsa_exception_fp_ieee_div_zero 0
		.amdhsa_exception_fp_ieee_overflow 0
		.amdhsa_exception_fp_ieee_underflow 0
		.amdhsa_exception_fp_ieee_inexact 0
		.amdhsa_exception_int_div_zero 0
	.end_amdhsa_kernel
	.text
.Lfunc_end0:
	.size	fft_rtc_back_len224_factors_7_2_2_2_2_2_wgs_64_tpt_16_halfLds_dp_op_CI_CI_unitstride_sbrr_C2R_dirReg, .Lfunc_end0-fft_rtc_back_len224_factors_7_2_2_2_2_2_wgs_64_tpt_16_halfLds_dp_op_CI_CI_unitstride_sbrr_C2R_dirReg
                                        ; -- End function
	.section	.AMDGPU.csdata,"",@progbits
; Kernel info:
; codeLenInByte = 10024
; NumSgprs: 34
; NumVgprs: 100
; NumAgprs: 0
; TotalNumVgprs: 100
; ScratchSize: 0
; MemoryBound: 0
; FloatMode: 240
; IeeeMode: 1
; LDSByteSize: 0 bytes/workgroup (compile time only)
; SGPRBlocks: 4
; VGPRBlocks: 12
; NumSGPRsForWavesPerEU: 34
; NumVGPRsForWavesPerEU: 100
; AccumOffset: 100
; Occupancy: 4
; WaveLimiterHint : 1
; COMPUTE_PGM_RSRC2:SCRATCH_EN: 0
; COMPUTE_PGM_RSRC2:USER_SGPR: 2
; COMPUTE_PGM_RSRC2:TRAP_HANDLER: 0
; COMPUTE_PGM_RSRC2:TGID_X_EN: 1
; COMPUTE_PGM_RSRC2:TGID_Y_EN: 0
; COMPUTE_PGM_RSRC2:TGID_Z_EN: 0
; COMPUTE_PGM_RSRC2:TIDIG_COMP_CNT: 0
; COMPUTE_PGM_RSRC3_GFX90A:ACCUM_OFFSET: 24
; COMPUTE_PGM_RSRC3_GFX90A:TG_SPLIT: 0
	.text
	.p2alignl 6, 3212836864
	.fill 256, 4, 3212836864
	.type	__hip_cuid_174d608a3ec57158,@object ; @__hip_cuid_174d608a3ec57158
	.section	.bss,"aw",@nobits
	.globl	__hip_cuid_174d608a3ec57158
__hip_cuid_174d608a3ec57158:
	.byte	0                               ; 0x0
	.size	__hip_cuid_174d608a3ec57158, 1

	.ident	"AMD clang version 19.0.0git (https://github.com/RadeonOpenCompute/llvm-project roc-6.4.0 25133 c7fe45cf4b819c5991fe208aaa96edf142730f1d)"
	.section	".note.GNU-stack","",@progbits
	.addrsig
	.addrsig_sym __hip_cuid_174d608a3ec57158
	.amdgpu_metadata
---
amdhsa.kernels:
  - .agpr_count:     0
    .args:
      - .actual_access:  read_only
        .address_space:  global
        .offset:         0
        .size:           8
        .value_kind:     global_buffer
      - .offset:         8
        .size:           8
        .value_kind:     by_value
      - .actual_access:  read_only
        .address_space:  global
        .offset:         16
        .size:           8
        .value_kind:     global_buffer
      - .actual_access:  read_only
        .address_space:  global
        .offset:         24
        .size:           8
        .value_kind:     global_buffer
      - .actual_access:  read_only
        .address_space:  global
        .offset:         32
        .size:           8
        .value_kind:     global_buffer
      - .offset:         40
        .size:           8
        .value_kind:     by_value
      - .actual_access:  read_only
        .address_space:  global
        .offset:         48
        .size:           8
        .value_kind:     global_buffer
      - .actual_access:  read_only
        .address_space:  global
        .offset:         56
        .size:           8
        .value_kind:     global_buffer
      - .offset:         64
        .size:           4
        .value_kind:     by_value
      - .actual_access:  read_only
        .address_space:  global
        .offset:         72
        .size:           8
        .value_kind:     global_buffer
      - .actual_access:  read_only
        .address_space:  global
        .offset:         80
        .size:           8
        .value_kind:     global_buffer
      - .actual_access:  read_only
        .address_space:  global
        .offset:         88
        .size:           8
        .value_kind:     global_buffer
      - .actual_access:  write_only
        .address_space:  global
        .offset:         96
        .size:           8
        .value_kind:     global_buffer
    .group_segment_fixed_size: 0
    .kernarg_segment_align: 8
    .kernarg_segment_size: 104
    .language:       OpenCL C
    .language_version:
      - 2
      - 0
    .max_flat_workgroup_size: 64
    .name:           fft_rtc_back_len224_factors_7_2_2_2_2_2_wgs_64_tpt_16_halfLds_dp_op_CI_CI_unitstride_sbrr_C2R_dirReg
    .private_segment_fixed_size: 0
    .sgpr_count:     34
    .sgpr_spill_count: 0
    .symbol:         fft_rtc_back_len224_factors_7_2_2_2_2_2_wgs_64_tpt_16_halfLds_dp_op_CI_CI_unitstride_sbrr_C2R_dirReg.kd
    .uniform_work_group_size: 1
    .uses_dynamic_stack: false
    .vgpr_count:     100
    .vgpr_spill_count: 0
    .wavefront_size: 64
amdhsa.target:   amdgcn-amd-amdhsa--gfx950
amdhsa.version:
  - 1
  - 2
...

	.end_amdgpu_metadata
